;; amdgpu-corpus repo=ROCm/rocFFT kind=compiled arch=gfx950 opt=O3
	.text
	.amdgcn_target "amdgcn-amd-amdhsa--gfx950"
	.amdhsa_code_object_version 6
	.protected	fft_rtc_back_len338_factors_13_2_13_wgs_52_tpt_26_halfLds_dp_ip_CI_unitstride_sbrr_dirReg ; -- Begin function fft_rtc_back_len338_factors_13_2_13_wgs_52_tpt_26_halfLds_dp_ip_CI_unitstride_sbrr_dirReg
	.globl	fft_rtc_back_len338_factors_13_2_13_wgs_52_tpt_26_halfLds_dp_ip_CI_unitstride_sbrr_dirReg
	.p2align	8
	.type	fft_rtc_back_len338_factors_13_2_13_wgs_52_tpt_26_halfLds_dp_ip_CI_unitstride_sbrr_dirReg,@function
fft_rtc_back_len338_factors_13_2_13_wgs_52_tpt_26_halfLds_dp_ip_CI_unitstride_sbrr_dirReg: ; @fft_rtc_back_len338_factors_13_2_13_wgs_52_tpt_26_halfLds_dp_ip_CI_unitstride_sbrr_dirReg
; %bb.0:
	s_load_dwordx2 s[8:9], s[0:1], 0x50
	s_load_dwordx4 s[4:7], s[0:1], 0x0
	s_load_dwordx2 s[10:11], s[0:1], 0x18
	v_mul_u32_u24_e32 v1, 0x9d9, v0
	v_lshrrev_b32_e32 v44, 16, v1
	v_lshl_add_u32 v6, s2, 1, v44
	v_mov_b32_e32 v4, 0
	s_waitcnt lgkmcnt(0)
	v_cmp_lt_u64_e64 s[2:3], s[6:7], 2
	v_mov_b32_e32 v7, v4
	s_and_b64 vcc, exec, s[2:3]
	v_mov_b64_e32 v[2:3], 0
	s_cbranch_vccnz .LBB0_8
; %bb.1:
	s_load_dwordx2 s[2:3], s[0:1], 0x10
	s_add_u32 s12, s10, 8
	s_addc_u32 s13, s11, 0
	s_mov_b64 s[14:15], 1
	v_mov_b64_e32 v[2:3], 0
	s_waitcnt lgkmcnt(0)
	s_add_u32 s16, s2, 8
	s_addc_u32 s17, s3, 0
.LBB0_2:                                ; =>This Inner Loop Header: Depth=1
	s_load_dwordx2 s[18:19], s[16:17], 0x0
                                        ; implicit-def: $vgpr8_vgpr9
	s_waitcnt lgkmcnt(0)
	v_or_b32_e32 v5, s19, v7
	v_cmp_ne_u64_e32 vcc, 0, v[4:5]
	s_and_saveexec_b64 s[2:3], vcc
	s_xor_b64 s[20:21], exec, s[2:3]
	s_cbranch_execz .LBB0_4
; %bb.3:                                ;   in Loop: Header=BB0_2 Depth=1
	v_cvt_f32_u32_e32 v1, s18
	v_cvt_f32_u32_e32 v5, s19
	s_sub_u32 s2, 0, s18
	s_subb_u32 s3, 0, s19
	v_fmac_f32_e32 v1, 0x4f800000, v5
	v_rcp_f32_e32 v1, v1
	s_nop 0
	v_mul_f32_e32 v1, 0x5f7ffffc, v1
	v_mul_f32_e32 v5, 0x2f800000, v1
	v_trunc_f32_e32 v5, v5
	v_fmac_f32_e32 v1, 0xcf800000, v5
	v_cvt_u32_f32_e32 v5, v5
	v_cvt_u32_f32_e32 v1, v1
	v_mul_lo_u32 v8, s2, v5
	v_mul_hi_u32 v10, s2, v1
	v_mul_lo_u32 v9, s3, v1
	v_add_u32_e32 v10, v10, v8
	v_mul_lo_u32 v12, s2, v1
	v_add_u32_e32 v13, v10, v9
	v_mul_hi_u32 v8, v1, v12
	v_mul_hi_u32 v11, v1, v13
	v_mul_lo_u32 v10, v1, v13
	v_mov_b32_e32 v9, v4
	v_lshl_add_u64 v[8:9], v[8:9], 0, v[10:11]
	v_mul_hi_u32 v11, v5, v12
	v_mul_lo_u32 v12, v5, v12
	v_add_co_u32_e32 v8, vcc, v8, v12
	v_mul_hi_u32 v10, v5, v13
	s_nop 0
	v_addc_co_u32_e32 v8, vcc, v9, v11, vcc
	v_mov_b32_e32 v9, v4
	s_nop 0
	v_addc_co_u32_e32 v11, vcc, 0, v10, vcc
	v_mul_lo_u32 v10, v5, v13
	v_lshl_add_u64 v[8:9], v[8:9], 0, v[10:11]
	v_add_co_u32_e32 v1, vcc, v1, v8
	v_mul_lo_u32 v10, s2, v1
	s_nop 0
	v_addc_co_u32_e32 v5, vcc, v5, v9, vcc
	v_mul_lo_u32 v8, s2, v5
	v_mul_hi_u32 v9, s2, v1
	v_add_u32_e32 v8, v9, v8
	v_mul_lo_u32 v9, s3, v1
	v_add_u32_e32 v12, v8, v9
	v_mul_hi_u32 v14, v5, v10
	v_mul_lo_u32 v15, v5, v10
	v_mul_hi_u32 v9, v1, v12
	v_mul_lo_u32 v8, v1, v12
	v_mul_hi_u32 v10, v1, v10
	v_mov_b32_e32 v11, v4
	v_lshl_add_u64 v[8:9], v[10:11], 0, v[8:9]
	v_add_co_u32_e32 v8, vcc, v8, v15
	v_mul_hi_u32 v13, v5, v12
	s_nop 0
	v_addc_co_u32_e32 v8, vcc, v9, v14, vcc
	v_mul_lo_u32 v10, v5, v12
	s_nop 0
	v_addc_co_u32_e32 v11, vcc, 0, v13, vcc
	v_mov_b32_e32 v9, v4
	v_lshl_add_u64 v[8:9], v[8:9], 0, v[10:11]
	v_add_co_u32_e32 v1, vcc, v1, v8
	v_mul_hi_u32 v10, v6, v1
	s_nop 0
	v_addc_co_u32_e32 v5, vcc, v5, v9, vcc
	v_mad_u64_u32 v[8:9], s[2:3], v6, v5, 0
	v_mov_b32_e32 v11, v4
	v_lshl_add_u64 v[8:9], v[10:11], 0, v[8:9]
	v_mad_u64_u32 v[12:13], s[2:3], v7, v1, 0
	v_add_co_u32_e32 v1, vcc, v8, v12
	v_mad_u64_u32 v[10:11], s[2:3], v7, v5, 0
	s_nop 0
	v_addc_co_u32_e32 v8, vcc, v9, v13, vcc
	v_mov_b32_e32 v9, v4
	s_nop 0
	v_addc_co_u32_e32 v11, vcc, 0, v11, vcc
	v_lshl_add_u64 v[8:9], v[8:9], 0, v[10:11]
	v_mul_lo_u32 v1, s19, v8
	v_mul_lo_u32 v5, s18, v9
	v_mad_u64_u32 v[10:11], s[2:3], s18, v8, 0
	v_add3_u32 v1, v11, v5, v1
	v_sub_u32_e32 v5, v7, v1
	v_mov_b32_e32 v11, s19
	v_sub_co_u32_e32 v14, vcc, v6, v10
	v_lshl_add_u64 v[12:13], v[8:9], 0, 1
	s_nop 0
	v_subb_co_u32_e64 v5, s[2:3], v5, v11, vcc
	v_subrev_co_u32_e64 v10, s[2:3], s18, v14
	v_subb_co_u32_e32 v1, vcc, v7, v1, vcc
	s_nop 0
	v_subbrev_co_u32_e64 v5, s[2:3], 0, v5, s[2:3]
	v_cmp_le_u32_e64 s[2:3], s19, v5
	v_cmp_le_u32_e32 vcc, s19, v1
	s_nop 0
	v_cndmask_b32_e64 v11, 0, -1, s[2:3]
	v_cmp_le_u32_e64 s[2:3], s18, v10
	s_nop 1
	v_cndmask_b32_e64 v10, 0, -1, s[2:3]
	v_cmp_eq_u32_e64 s[2:3], s19, v5
	s_nop 1
	v_cndmask_b32_e64 v5, v11, v10, s[2:3]
	v_lshl_add_u64 v[10:11], v[8:9], 0, 2
	v_cmp_ne_u32_e64 s[2:3], 0, v5
	s_nop 1
	v_cndmask_b32_e64 v5, v13, v11, s[2:3]
	v_cndmask_b32_e64 v11, 0, -1, vcc
	v_cmp_le_u32_e32 vcc, s18, v14
	s_nop 1
	v_cndmask_b32_e64 v13, 0, -1, vcc
	v_cmp_eq_u32_e32 vcc, s19, v1
	s_nop 1
	v_cndmask_b32_e32 v1, v11, v13, vcc
	v_cmp_ne_u32_e32 vcc, 0, v1
	v_cndmask_b32_e64 v1, v12, v10, s[2:3]
	s_nop 0
	v_cndmask_b32_e32 v9, v9, v5, vcc
	v_cndmask_b32_e32 v8, v8, v1, vcc
.LBB0_4:                                ;   in Loop: Header=BB0_2 Depth=1
	s_andn2_saveexec_b64 s[2:3], s[20:21]
	s_cbranch_execz .LBB0_6
; %bb.5:                                ;   in Loop: Header=BB0_2 Depth=1
	v_cvt_f32_u32_e32 v1, s18
	s_sub_i32 s20, 0, s18
	v_rcp_iflag_f32_e32 v1, v1
	s_nop 0
	v_mul_f32_e32 v1, 0x4f7ffffe, v1
	v_cvt_u32_f32_e32 v1, v1
	v_mul_lo_u32 v5, s20, v1
	v_mul_hi_u32 v5, v1, v5
	v_add_u32_e32 v1, v1, v5
	v_mul_hi_u32 v1, v6, v1
	v_mul_lo_u32 v5, v1, s18
	v_sub_u32_e32 v5, v6, v5
	v_add_u32_e32 v8, 1, v1
	v_subrev_u32_e32 v9, s18, v5
	v_cmp_le_u32_e32 vcc, s18, v5
	s_nop 1
	v_cndmask_b32_e32 v5, v5, v9, vcc
	v_cndmask_b32_e32 v1, v1, v8, vcc
	v_add_u32_e32 v8, 1, v1
	v_cmp_le_u32_e32 vcc, s18, v5
	v_mov_b32_e32 v9, v4
	s_nop 0
	v_cndmask_b32_e32 v8, v1, v8, vcc
.LBB0_6:                                ;   in Loop: Header=BB0_2 Depth=1
	s_or_b64 exec, exec, s[2:3]
	v_mad_u64_u32 v[10:11], s[2:3], v8, s18, 0
	s_load_dwordx2 s[2:3], s[12:13], 0x0
	v_mul_lo_u32 v1, v9, s18
	v_mul_lo_u32 v5, v8, s19
	v_add3_u32 v1, v11, v5, v1
	v_sub_co_u32_e32 v5, vcc, v6, v10
	s_add_u32 s14, s14, 1
	s_nop 0
	v_subb_co_u32_e32 v1, vcc, v7, v1, vcc
	s_addc_u32 s15, s15, 0
	s_waitcnt lgkmcnt(0)
	v_mul_lo_u32 v1, s2, v1
	v_mul_lo_u32 v6, s3, v5
	v_mad_u64_u32 v[2:3], s[2:3], s2, v5, v[2:3]
	s_add_u32 s12, s12, 8
	v_add3_u32 v3, v6, v3, v1
	s_addc_u32 s13, s13, 0
	v_mov_b64_e32 v[6:7], s[6:7]
	s_add_u32 s16, s16, 8
	v_cmp_ge_u64_e32 vcc, s[14:15], v[6:7]
	s_addc_u32 s17, s17, 0
	s_cbranch_vccnz .LBB0_9
; %bb.7:                                ;   in Loop: Header=BB0_2 Depth=1
	v_mov_b64_e32 v[6:7], v[8:9]
	s_branch .LBB0_2
.LBB0_8:
	v_mov_b64_e32 v[8:9], v[6:7]
.LBB0_9:
	s_lshl_b64 s[2:3], s[6:7], 3
	s_add_u32 s2, s10, s2
	s_addc_u32 s3, s11, s3
	s_load_dwordx2 s[6:7], s[2:3], 0x0
	s_load_dwordx2 s[10:11], s[0:1], 0x20
	v_mov_b64_e32 v[78:79], 0
                                        ; implicit-def: $vgpr54_vgpr55
                                        ; implicit-def: $vgpr50_vgpr51
                                        ; implicit-def: $vgpr42_vgpr43
                                        ; implicit-def: $vgpr30_vgpr31
                                        ; implicit-def: $vgpr14_vgpr15
                                        ; implicit-def: $vgpr6_vgpr7
                                        ; implicit-def: $vgpr10_vgpr11
                                        ; implicit-def: $vgpr18_vgpr19
                                        ; implicit-def: $vgpr22_vgpr23
                                        ; implicit-def: $vgpr34_vgpr35
                                        ; implicit-def: $vgpr38_vgpr39
                                        ; implicit-def: $vgpr26_vgpr27
	s_waitcnt lgkmcnt(0)
	v_mad_u64_u32 v[2:3], s[0:1], s6, v8, v[2:3]
	v_mul_lo_u32 v1, s6, v9
	v_mul_lo_u32 v4, s7, v8
	s_mov_b32 s0, 0x9d89d8a
	v_add3_u32 v3, v4, v3, v1
	v_mul_hi_u32 v1, v0, s0
	v_mul_u32_u24_e32 v1, 26, v1
	v_cmp_gt_u64_e32 vcc, s[10:11], v[8:9]
	v_sub_u32_e32 v80, v0, v1
	v_lshl_add_u64 v[76:77], v[2:3], 4, s[8:9]
                                        ; implicit-def: $vgpr2_vgpr3
	s_and_saveexec_b64 s[2:3], vcc
	s_cbranch_execz .LBB0_11
; %bb.10:
	v_mov_b32_e32 v81, 0
	v_lshl_add_u64 v[40:41], v[80:81], 4, v[76:77]
	global_load_dwordx4 v[24:27], v[40:41], off
	global_load_dwordx4 v[36:39], v[40:41], off offset:416
	global_load_dwordx4 v[32:35], v[40:41], off offset:832
	;; [unrolled: 1-line block ×9, first 2 shown]
	s_movk_i32 s0, 0x1000
	v_add_co_u32_e64 v46, s[0:1], s0, v40
	v_mov_b64_e32 v[78:79], v[80:81]
	s_nop 0
	v_addc_co_u32_e64 v47, s[0:1], 0, v41, s[0:1]
	global_load_dwordx4 v[40:43], v[46:47], off offset:64
	global_load_dwordx4 v[48:51], v[46:47], off offset:480
	;; [unrolled: 1-line block ×3, first 2 shown]
.LBB0_11:
	s_or_b64 exec, exec, s[2:3]
	v_and_b32_e32 v44, 1, v44
	v_mov_b32_e32 v45, 0x152
	v_cmp_eq_u32_e64 s[0:1], 1, v44
	s_mov_b32 s30, 0x4267c47c
	s_mov_b32 s18, 0x42a4c3d2
	v_cndmask_b32_e64 v81, 0, v45, s[0:1]
	s_waitcnt vmcnt(11)
	v_add_f64 v[44:45], v[36:37], v[24:25]
	s_waitcnt vmcnt(10)
	v_add_f64 v[44:45], v[32:33], v[44:45]
	;; [unrolled: 2-line block ×10, first 2 shown]
	s_mov_b32 s24, 0x66966769
	s_mov_b32 s12, 0x2ef20147
	;; [unrolled: 1-line block ×4, first 2 shown]
	s_waitcnt vmcnt(1)
	v_add_f64 v[44:45], v[48:49], v[44:45]
	s_waitcnt vmcnt(0)
	v_add_f64 v[56:57], v[38:39], -v[54:55]
	s_mov_b32 s31, 0xbfddbe06
	s_mov_b32 s8, 0xe00740e9
	;; [unrolled: 1-line block ×12, first 2 shown]
	v_add_f64 v[46:47], v[52:53], v[44:45]
	v_add_f64 v[44:45], v[52:53], v[36:37]
	v_mul_f64 v[58:59], v[56:57], s[30:31]
	s_mov_b32 s9, 0x3fec55a7
	v_mul_f64 v[62:63], v[56:57], s[18:19]
	s_mov_b32 s7, 0x3fe22d96
	;; [unrolled: 2-line block ×6, first 2 shown]
	v_fma_f64 v[60:61], s[8:9], v[44:45], v[58:59]
	v_fma_f64 v[58:59], v[44:45], s[8:9], -v[58:59]
	v_fma_f64 v[64:65], s[6:7], v[44:45], v[62:63]
	v_fma_f64 v[62:63], v[44:45], s[6:7], -v[62:63]
	;; [unrolled: 2-line block ×6, first 2 shown]
	v_add_f64 v[56:57], v[34:35], -v[50:51]
	v_add_f64 v[60:61], v[24:25], v[60:61]
	v_add_f64 v[58:59], v[24:25], v[58:59]
	;; [unrolled: 1-line block ×13, first 2 shown]
	v_mul_f64 v[86:87], v[56:57], s[18:19]
	v_fma_f64 v[88:89], s[6:7], v[44:45], v[86:87]
	v_fma_f64 v[86:87], v[44:45], s[6:7], -v[86:87]
	v_add_f64 v[58:59], v[86:87], v[58:59]
	v_mul_f64 v[86:87], v[56:57], s[12:13]
	v_add_f64 v[60:61], v[88:89], v[60:61]
	v_fma_f64 v[88:89], s[10:11], v[44:45], v[86:87]
	v_fma_f64 v[86:87], v[44:45], s[10:11], -v[86:87]
	v_add_f64 v[62:63], v[86:87], v[62:63]
	v_mul_f64 v[86:87], v[56:57], s[22:23]
	v_add_f64 v[64:65], v[88:89], v[64:65]
	v_fma_f64 v[88:89], s[20:21], v[44:45], v[86:87]
	v_fma_f64 v[86:87], v[44:45], s[20:21], -v[86:87]
	s_mov_b32 s35, 0x3fe5384d
	s_mov_b32 s34, s16
	v_add_f64 v[66:67], v[86:87], v[66:67]
	v_mul_f64 v[86:87], v[56:57], s[34:35]
	v_add_f64 v[68:69], v[88:89], v[68:69]
	v_fma_f64 v[88:89], s[14:15], v[44:45], v[86:87]
	v_fma_f64 v[86:87], v[44:45], s[14:15], -v[86:87]
	s_mov_b32 s27, 0x3fefc445
	s_mov_b32 s26, s24
	v_add_f64 v[70:71], v[86:87], v[70:71]
	v_mul_f64 v[86:87], v[56:57], s[26:27]
	s_mov_b32 s29, 0x3fddbe06
	s_mov_b32 s28, s30
	v_add_f64 v[72:73], v[88:89], v[72:73]
	v_fma_f64 v[88:89], s[2:3], v[44:45], v[86:87]
	v_fma_f64 v[86:87], v[44:45], s[2:3], -v[86:87]
	v_mul_f64 v[56:57], v[56:57], s[28:29]
	v_add_f64 v[74:75], v[86:87], v[74:75]
	v_fma_f64 v[86:87], s[8:9], v[44:45], v[56:57]
	v_fma_f64 v[44:45], v[44:45], s[8:9], -v[56:57]
	v_add_f64 v[56:57], v[22:23], -v[42:43]
	v_add_f64 v[84:85], v[86:87], v[84:85]
	v_add_f64 v[24:25], v[44:45], v[24:25]
	;; [unrolled: 1-line block ×3, first 2 shown]
	v_mul_f64 v[86:87], v[56:57], s[24:25]
	v_add_f64 v[82:83], v[88:89], v[82:83]
	v_fma_f64 v[88:89], s[2:3], v[44:45], v[86:87]
	v_fma_f64 v[86:87], v[44:45], s[2:3], -v[86:87]
	v_add_f64 v[58:59], v[86:87], v[58:59]
	v_mul_f64 v[86:87], v[56:57], s[22:23]
	v_add_f64 v[60:61], v[88:89], v[60:61]
	v_fma_f64 v[88:89], s[20:21], v[44:45], v[86:87]
	v_fma_f64 v[86:87], v[44:45], s[20:21], -v[86:87]
	s_mov_b32 s41, 0x3fedeba7
	s_mov_b32 s40, s12
	v_add_f64 v[62:63], v[86:87], v[62:63]
	v_mul_f64 v[86:87], v[56:57], s[40:41]
	v_add_f64 v[64:65], v[88:89], v[64:65]
	v_fma_f64 v[88:89], s[10:11], v[44:45], v[86:87]
	v_fma_f64 v[86:87], v[44:45], s[10:11], -v[86:87]
	v_add_f64 v[66:67], v[86:87], v[66:67]
	v_mul_f64 v[86:87], v[56:57], s[28:29]
	v_add_f64 v[68:69], v[88:89], v[68:69]
	v_fma_f64 v[88:89], s[8:9], v[44:45], v[86:87]
	v_fma_f64 v[86:87], v[44:45], s[8:9], -v[86:87]
	;; [unrolled: 5-line block ×3, first 2 shown]
	v_mul_f64 v[56:57], v[56:57], s[16:17]
	v_add_f64 v[74:75], v[86:87], v[74:75]
	v_fma_f64 v[86:87], s[14:15], v[44:45], v[56:57]
	v_fma_f64 v[44:45], v[44:45], s[14:15], -v[56:57]
	v_add_f64 v[56:57], v[18:19], -v[30:31]
	v_add_f64 v[84:85], v[86:87], v[84:85]
	v_add_f64 v[24:25], v[44:45], v[24:25]
	;; [unrolled: 1-line block ×3, first 2 shown]
	v_mul_f64 v[86:87], v[56:57], s[12:13]
	v_add_f64 v[82:83], v[88:89], v[82:83]
	v_fma_f64 v[88:89], s[10:11], v[44:45], v[86:87]
	v_fma_f64 v[86:87], v[44:45], s[10:11], -v[86:87]
	v_add_f64 v[58:59], v[86:87], v[58:59]
	v_mul_f64 v[86:87], v[56:57], s[34:35]
	v_add_f64 v[60:61], v[88:89], v[60:61]
	v_fma_f64 v[88:89], s[14:15], v[44:45], v[86:87]
	v_fma_f64 v[86:87], v[44:45], s[14:15], -v[86:87]
	v_add_f64 v[62:63], v[86:87], v[62:63]
	;; [unrolled: 5-line block ×3, first 2 shown]
	v_mul_f64 v[86:87], v[56:57], s[24:25]
	v_add_f64 v[68:69], v[88:89], v[68:69]
	v_fma_f64 v[88:89], s[2:3], v[44:45], v[86:87]
	v_fma_f64 v[86:87], v[44:45], s[2:3], -v[86:87]
	s_mov_b32 s39, 0x3fcea1e5
	s_mov_b32 s38, s22
	v_add_f64 v[70:71], v[86:87], v[70:71]
	v_mul_f64 v[86:87], v[56:57], s[38:39]
	s_mov_b32 s37, 0x3fea55e2
	s_mov_b32 s36, s18
	v_add_f64 v[72:73], v[88:89], v[72:73]
	v_fma_f64 v[88:89], s[20:21], v[44:45], v[86:87]
	v_fma_f64 v[86:87], v[44:45], s[20:21], -v[86:87]
	v_mul_f64 v[56:57], v[56:57], s[36:37]
	v_add_f64 v[74:75], v[86:87], v[74:75]
	v_fma_f64 v[86:87], s[6:7], v[44:45], v[56:57]
	v_fma_f64 v[44:45], v[44:45], s[6:7], -v[56:57]
	v_add_f64 v[56:57], v[10:11], -v[14:15]
	v_add_f64 v[84:85], v[86:87], v[84:85]
	v_add_f64 v[24:25], v[44:45], v[24:25]
	;; [unrolled: 1-line block ×3, first 2 shown]
	v_mul_f64 v[86:87], v[56:57], s[16:17]
	v_add_f64 v[82:83], v[88:89], v[82:83]
	v_fma_f64 v[88:89], s[14:15], v[44:45], v[86:87]
	v_fma_f64 v[86:87], v[44:45], s[14:15], -v[86:87]
	v_add_f64 v[58:59], v[86:87], v[58:59]
	v_mul_f64 v[86:87], v[56:57], s[26:27]
	v_add_f64 v[60:61], v[88:89], v[60:61]
	v_fma_f64 v[88:89], s[2:3], v[44:45], v[86:87]
	v_fma_f64 v[86:87], v[44:45], s[2:3], -v[86:87]
	v_add_f64 v[62:63], v[86:87], v[62:63]
	;; [unrolled: 5-line block ×4, first 2 shown]
	v_mul_f64 v[86:87], v[56:57], s[28:29]
	v_add_f64 v[72:73], v[88:89], v[72:73]
	v_fma_f64 v[88:89], s[8:9], v[44:45], v[86:87]
	v_fma_f64 v[86:87], v[44:45], s[8:9], -v[86:87]
	v_mul_f64 v[56:57], v[56:57], s[12:13]
	v_add_f64 v[74:75], v[86:87], v[74:75]
	v_fma_f64 v[86:87], s[10:11], v[44:45], v[56:57]
	v_fma_f64 v[44:45], v[44:45], s[10:11], -v[56:57]
	v_add_f64 v[90:91], v[2:3], -v[6:7]
	v_add_f64 v[82:83], v[88:89], v[82:83]
	v_add_f64 v[84:85], v[86:87], v[84:85]
	;; [unrolled: 1-line block ×4, first 2 shown]
	v_mul_f64 v[24:25], v[90:91], s[22:23]
	v_fma_f64 v[44:45], s[20:21], v[88:89], v[24:25]
	v_fma_f64 v[24:25], v[88:89], s[20:21], -v[24:25]
	v_add_f64 v[60:61], v[44:45], v[60:61]
	v_add_f64 v[44:45], v[24:25], v[58:59]
	v_mul_f64 v[24:25], v[90:91], s[28:29]
	v_fma_f64 v[56:57], s[8:9], v[88:89], v[24:25]
	v_add_f64 v[58:59], v[56:57], v[64:65]
	v_fma_f64 v[24:25], v[88:89], s[8:9], -v[24:25]
	v_mul_f64 v[56:57], v[90:91], s[16:17]
	v_add_f64 v[24:25], v[24:25], v[62:63]
	v_fma_f64 v[62:63], s[14:15], v[88:89], v[56:57]
	v_fma_f64 v[56:57], v[88:89], s[14:15], -v[56:57]
	v_mul_f64 v[64:65], v[90:91], s[36:37]
	v_add_f64 v[62:63], v[62:63], v[68:69]
	v_add_f64 v[56:57], v[56:57], v[66:67]
	v_fma_f64 v[66:67], s[6:7], v[88:89], v[64:65]
	v_fma_f64 v[64:65], v[88:89], s[6:7], -v[64:65]
	v_mul_f64 v[68:69], v[90:91], s[12:13]
	v_add_f64 v[66:67], v[66:67], v[72:73]
	;; [unrolled: 5-line block ×3, first 2 shown]
	v_add_f64 v[68:69], v[68:69], v[74:75]
	v_fma_f64 v[74:75], s[2:3], v[88:89], v[72:73]
	v_fma_f64 v[72:73], v[88:89], s[2:3], -v[72:73]
	v_lshl_add_u32 v82, v81, 3, 0
	s_movk_i32 s0, 0x68
	v_add_f64 v[72:73], v[72:73], v[86:87]
	v_mad_u32_u24 v86, v80, s0, v82
	s_movk_i32 s0, 0xffa0
	v_add_f64 v[74:75], v[74:75], v[84:85]
	v_mad_i32_i24 v91, v80, s0, v86
	ds_write2_b64 v86, v[46:47], v[60:61] offset1:1
	ds_write2_b64 v86, v[58:59], v[62:63] offset0:2 offset1:3
	ds_write2_b64 v86, v[66:67], v[70:71] offset0:4 offset1:5
	;; [unrolled: 1-line block ×5, first 2 shown]
	ds_write_b64 v86, v[44:45] offset:96
	s_waitcnt lgkmcnt(0)
	; wave barrier
	s_waitcnt lgkmcnt(0)
	ds_read2_b64 v[64:67], v91 offset0:130 offset1:169
	ds_read2_b64 v[68:71], v91 offset0:26 offset1:52
	;; [unrolled: 1-line block ×4, first 2 shown]
	v_add_u32_e32 v87, 0x400, v91
	v_lshl_add_u32 v90, v80, 3, v82
	ds_read2_b64 v[56:59], v87 offset0:119 offset1:145
	ds_read_b64 v[84:85], v90
	ds_read_b64 v[82:83], v91 offset:2392
	v_cmp_gt_u32_e64 s[0:1], 13, v80
	s_and_saveexec_b64 s[42:43], s[0:1]
	s_cbranch_execz .LBB0_13
; %bb.12:
	ds_read2_b64 v[44:47], v87 offset0:28 offset1:197
.LBB0_13:
	s_or_b64 exec, exec, s[42:43]
	v_add_f64 v[24:25], v[38:39], v[26:27]
	v_add_f64 v[24:25], v[34:35], v[24:25]
	;; [unrolled: 1-line block ×10, first 2 shown]
	v_add_f64 v[36:37], v[36:37], -v[52:53]
	v_add_f64 v[24:25], v[50:51], v[24:25]
	v_add_f64 v[38:39], v[54:55], v[38:39]
	v_mul_f64 v[52:53], v[36:37], s[30:31]
	v_mul_f64 v[88:89], v[36:37], s[18:19]
	;; [unrolled: 1-line block ×6, first 2 shown]
	v_add_f64 v[24:25], v[54:55], v[24:25]
	v_fma_f64 v[54:55], v[38:39], s[8:9], -v[52:53]
	v_fmac_f64_e32 v[52:53], s[8:9], v[38:39]
	v_fma_f64 v[92:93], v[38:39], s[6:7], -v[88:89]
	v_fmac_f64_e32 v[88:89], s[6:7], v[38:39]
	;; [unrolled: 2-line block ×6, first 2 shown]
	v_add_f64 v[32:33], v[32:33], -v[48:49]
	v_add_f64 v[54:55], v[26:27], v[54:55]
	v_add_f64 v[52:53], v[26:27], v[52:53]
	;; [unrolled: 1-line block ×13, first 2 shown]
	v_mul_f64 v[36:37], v[32:33], s[18:19]
	v_fma_f64 v[38:39], v[34:35], s[6:7], -v[36:37]
	v_fmac_f64_e32 v[36:37], s[6:7], v[34:35]
	v_mul_f64 v[48:49], v[32:33], s[12:13]
	v_add_f64 v[36:37], v[36:37], v[52:53]
	v_fma_f64 v[50:51], v[34:35], s[10:11], -v[48:49]
	v_fmac_f64_e32 v[48:49], s[10:11], v[34:35]
	v_mul_f64 v[52:53], v[32:33], s[22:23]
	v_add_f64 v[38:39], v[38:39], v[54:55]
	v_add_f64 v[48:49], v[48:49], v[88:89]
	v_fma_f64 v[54:55], v[34:35], s[20:21], -v[52:53]
	v_fmac_f64_e32 v[52:53], s[20:21], v[34:35]
	v_mul_f64 v[88:89], v[32:33], s[34:35]
	v_add_f64 v[50:51], v[50:51], v[92:93]
	v_add_f64 v[52:53], v[52:53], v[94:95]
	v_fma_f64 v[92:93], v[34:35], s[14:15], -v[88:89]
	v_fmac_f64_e32 v[88:89], s[14:15], v[34:35]
	v_mul_f64 v[94:95], v[32:33], s[26:27]
	v_mul_f64 v[32:33], v[32:33], s[28:29]
	v_add_f64 v[88:89], v[88:89], v[98:99]
	v_fma_f64 v[98:99], v[34:35], s[8:9], -v[32:33]
	v_fmac_f64_e32 v[32:33], s[8:9], v[34:35]
	v_add_f64 v[20:21], v[20:21], -v[40:41]
	v_add_f64 v[26:27], v[32:33], v[26:27]
	v_add_f64 v[22:23], v[42:43], v[22:23]
	v_mul_f64 v[32:33], v[20:21], s[24:25]
	v_add_f64 v[54:55], v[54:55], v[96:97]
	v_fma_f64 v[96:97], v[34:35], s[2:3], -v[94:95]
	v_fmac_f64_e32 v[94:95], s[2:3], v[34:35]
	v_fma_f64 v[34:35], v[22:23], s[2:3], -v[32:33]
	v_fmac_f64_e32 v[32:33], s[2:3], v[22:23]
	v_add_f64 v[32:33], v[32:33], v[36:37]
	v_mul_f64 v[36:37], v[20:21], s[22:23]
	v_add_f64 v[34:35], v[34:35], v[38:39]
	v_fma_f64 v[38:39], v[22:23], s[20:21], -v[36:37]
	v_fmac_f64_e32 v[36:37], s[20:21], v[22:23]
	v_mul_f64 v[40:41], v[20:21], s[40:41]
	v_add_f64 v[36:37], v[36:37], v[48:49]
	v_fma_f64 v[42:43], v[22:23], s[10:11], -v[40:41]
	v_fmac_f64_e32 v[40:41], s[10:11], v[22:23]
	v_mul_f64 v[48:49], v[20:21], s[28:29]
	v_add_f64 v[38:39], v[38:39], v[50:51]
	v_add_f64 v[40:41], v[40:41], v[52:53]
	v_fma_f64 v[50:51], v[22:23], s[8:9], -v[48:49]
	v_fmac_f64_e32 v[48:49], s[8:9], v[22:23]
	v_mul_f64 v[52:53], v[20:21], s[18:19]
	v_mul_f64 v[20:21], v[20:21], s[16:17]
	v_add_f64 v[16:17], v[16:17], -v[28:29]
	v_add_f64 v[42:43], v[42:43], v[54:55]
	v_add_f64 v[48:49], v[48:49], v[88:89]
	v_fma_f64 v[54:55], v[22:23], s[6:7], -v[52:53]
	v_fmac_f64_e32 v[52:53], s[6:7], v[22:23]
	v_fma_f64 v[88:89], v[22:23], s[14:15], -v[20:21]
	v_fmac_f64_e32 v[20:21], s[14:15], v[22:23]
	v_add_f64 v[18:19], v[30:31], v[18:19]
	v_mul_f64 v[22:23], v[16:17], s[12:13]
	v_add_f64 v[20:21], v[20:21], v[26:27]
	v_fma_f64 v[26:27], v[18:19], s[10:11], -v[22:23]
	v_fmac_f64_e32 v[22:23], s[10:11], v[18:19]
	v_mul_f64 v[28:29], v[16:17], s[34:35]
	v_add_f64 v[22:23], v[22:23], v[32:33]
	v_fma_f64 v[30:31], v[18:19], s[14:15], -v[28:29]
	v_fmac_f64_e32 v[28:29], s[14:15], v[18:19]
	v_mul_f64 v[32:33], v[16:17], s[28:29]
	v_add_f64 v[26:27], v[26:27], v[34:35]
	v_add_f64 v[28:29], v[28:29], v[36:37]
	v_fma_f64 v[34:35], v[18:19], s[8:9], -v[32:33]
	v_fmac_f64_e32 v[32:33], s[8:9], v[18:19]
	v_mul_f64 v[36:37], v[16:17], s[24:25]
	v_add_f64 v[8:9], v[8:9], -v[12:13]
	v_add_f64 v[30:31], v[30:31], v[38:39]
	v_add_f64 v[32:33], v[32:33], v[40:41]
	v_fma_f64 v[38:39], v[18:19], s[2:3], -v[36:37]
	v_fmac_f64_e32 v[36:37], s[2:3], v[18:19]
	v_mul_f64 v[40:41], v[16:17], s[38:39]
	v_mul_f64 v[16:17], v[16:17], s[36:37]
	v_add_f64 v[10:11], v[14:15], v[10:11]
	v_mul_f64 v[12:13], v[8:9], s[16:17]
	v_add_f64 v[34:35], v[34:35], v[42:43]
	v_add_f64 v[36:37], v[36:37], v[48:49]
	v_fma_f64 v[42:43], v[18:19], s[20:21], -v[40:41]
	v_fmac_f64_e32 v[40:41], s[20:21], v[18:19]
	v_fma_f64 v[48:49], v[18:19], s[6:7], -v[16:17]
	v_fmac_f64_e32 v[16:17], s[6:7], v[18:19]
	;; [unrolled: 2-line block ×3, first 2 shown]
	v_mul_f64 v[18:19], v[8:9], s[26:27]
	v_add_f64 v[16:17], v[16:17], v[20:21]
	v_add_f64 v[12:13], v[12:13], v[22:23]
	v_fma_f64 v[20:21], v[10:11], s[2:3], -v[18:19]
	v_fmac_f64_e32 v[18:19], s[2:3], v[10:11]
	v_mul_f64 v[22:23], v[8:9], s[18:19]
	v_add_f64 v[14:15], v[14:15], v[26:27]
	v_add_f64 v[18:19], v[18:19], v[28:29]
	v_fma_f64 v[26:27], v[10:11], s[6:7], -v[22:23]
	v_fmac_f64_e32 v[22:23], s[6:7], v[10:11]
	v_mul_f64 v[28:29], v[8:9], s[38:39]
	v_add_f64 v[0:1], v[0:1], -v[4:5]
	v_add_f64 v[20:21], v[20:21], v[30:31]
	v_add_f64 v[22:23], v[22:23], v[32:33]
	v_fma_f64 v[30:31], v[10:11], s[20:21], -v[28:29]
	v_fmac_f64_e32 v[28:29], s[20:21], v[10:11]
	v_mul_f64 v[32:33], v[8:9], s[28:29]
	v_mul_f64 v[8:9], v[8:9], s[12:13]
	v_add_f64 v[2:3], v[6:7], v[2:3]
	v_mul_f64 v[4:5], v[0:1], s[22:23]
	v_add_f64 v[28:29], v[28:29], v[36:37]
	v_fma_f64 v[36:37], v[10:11], s[10:11], -v[8:9]
	v_fmac_f64_e32 v[8:9], s[10:11], v[10:11]
	v_fma_f64 v[6:7], v[2:3], s[20:21], -v[4:5]
	v_fmac_f64_e32 v[4:5], s[20:21], v[2:3]
	v_add_f64 v[26:27], v[26:27], v[34:35]
	v_fma_f64 v[34:35], v[10:11], s[8:9], -v[32:33]
	v_fmac_f64_e32 v[32:33], s[8:9], v[10:11]
	v_add_f64 v[10:11], v[8:9], v[16:17]
	v_add_f64 v[8:9], v[4:5], v[12:13]
	v_mul_f64 v[4:5], v[0:1], s[28:29]
	v_add_f64 v[92:93], v[92:93], v[100:101]
	v_add_f64 v[94:95], v[94:95], v[102:103]
	;; [unrolled: 1-line block ×3, first 2 shown]
	v_fma_f64 v[12:13], v[2:3], s[8:9], -v[4:5]
	v_fmac_f64_e32 v[4:5], s[8:9], v[2:3]
	v_mul_f64 v[14:15], v[0:1], s[16:17]
	v_add_f64 v[96:97], v[96:97], v[104:105]
	v_add_f64 v[98:99], v[98:99], v[106:107]
	v_add_f64 v[50:51], v[50:51], v[92:93]
	v_add_f64 v[52:53], v[52:53], v[94:95]
	v_add_f64 v[4:5], v[4:5], v[18:19]
	v_fma_f64 v[16:17], v[2:3], s[14:15], -v[14:15]
	v_fmac_f64_e32 v[14:15], s[14:15], v[2:3]
	v_mul_f64 v[18:19], v[0:1], s[36:37]
	v_add_f64 v[54:55], v[54:55], v[96:97]
	v_add_f64 v[88:89], v[88:89], v[98:99]
	;; [unrolled: 1-line block ×6, first 2 shown]
	v_fma_f64 v[20:21], v[2:3], s[6:7], -v[18:19]
	v_fmac_f64_e32 v[18:19], s[6:7], v[2:3]
	v_mul_f64 v[22:23], v[0:1], s[12:13]
	v_mul_f64 v[0:1], v[0:1], s[26:27]
	v_add_f64 v[42:43], v[42:43], v[54:55]
	v_add_f64 v[48:49], v[48:49], v[88:89]
	;; [unrolled: 1-line block ×6, first 2 shown]
	v_fma_f64 v[26:27], v[2:3], s[10:11], -v[22:23]
	v_fmac_f64_e32 v[22:23], s[10:11], v[2:3]
	v_fma_f64 v[28:29], v[2:3], s[2:3], -v[0:1]
	v_fmac_f64_e32 v[0:1], s[2:3], v[2:3]
	v_add_f64 v[34:35], v[34:35], v[42:43]
	v_add_f64 v[36:37], v[36:37], v[48:49]
	;; [unrolled: 1-line block ×7, first 2 shown]
	s_waitcnt lgkmcnt(0)
	; wave barrier
	s_waitcnt lgkmcnt(0)
	ds_write2_b64 v86, v[24:25], v[6:7] offset1:1
	ds_write2_b64 v86, v[12:13], v[16:17] offset0:2 offset1:3
	ds_write2_b64 v86, v[20:21], v[26:27] offset0:4 offset1:5
	;; [unrolled: 1-line block ×5, first 2 shown]
	ds_write_b64 v86, v[8:9] offset:96
	s_waitcnt lgkmcnt(0)
	; wave barrier
	s_waitcnt lgkmcnt(0)
	ds_read2_b64 v[0:3], v91 offset0:130 offset1:169
	ds_read2_b64 v[12:15], v91 offset0:26 offset1:52
	;; [unrolled: 1-line block ×5, first 2 shown]
	ds_read_b64 v[86:87], v90
	ds_read_b64 v[88:89], v91 offset:2392
	s_and_saveexec_b64 s[2:3], s[0:1]
	s_cbranch_execz .LBB0_15
; %bb.14:
	v_add_u32_e32 v8, 0x400, v91
	ds_read2_b64 v[8:11], v8 offset0:28 offset1:197
.LBB0_15:
	s_or_b64 exec, exec, s[2:3]
	v_add_u32_e32 v24, -13, v80
	v_cndmask_b32_e64 v94, v24, v80, s[0:1]
	v_add_u16_e32 v24, 26, v80
	s_movk_i32 s2, 0x4f
	v_mul_lo_u16_sdwa v25, v24, s2 dst_sel:DWORD dst_unused:UNUSED_PAD src0_sel:BYTE_0 src1_sel:DWORD
	v_lshrrev_b16_e32 v96, 10, v25
	v_mov_b32_e32 v95, 0
	v_mul_lo_u16_e32 v25, 13, v96
	v_lshl_add_u64 v[32:33], v[94:95], 4, s[4:5]
	v_sub_u16_e32 v97, v24, v25
	v_mov_b32_e32 v40, 4
	v_lshlrev_b32_sdwa v34, v40, v97 dst_sel:DWORD dst_unused:UNUSED_PAD src0_sel:DWORD src1_sel:BYTE_0
	global_load_dwordx4 v[28:31], v[32:33], off
	global_load_dwordx4 v[24:27], v34, s[4:5]
	v_add_u16_e32 v32, 52, v80
	v_mul_lo_u16_sdwa v33, v32, s2 dst_sel:DWORD dst_unused:UNUSED_PAD src0_sel:BYTE_0 src1_sel:DWORD
	v_lshrrev_b16_e32 v98, 10, v33
	v_mul_lo_u16_e32 v33, 13, v98
	v_sub_u16_e32 v99, v32, v33
	v_add_u16_e32 v32, 0x4e, v80
	v_mul_lo_u16_sdwa v33, v32, s2 dst_sel:DWORD dst_unused:UNUSED_PAD src0_sel:BYTE_0 src1_sel:DWORD
	v_lshrrev_b16_e32 v108, 10, v33
	v_mul_lo_u16_e32 v33, 13, v108
	v_lshlrev_b32_sdwa v41, v40, v99 dst_sel:DWORD dst_unused:UNUSED_PAD src0_sel:DWORD src1_sel:BYTE_0
	v_sub_u16_e32 v109, v32, v33
	v_lshlrev_b32_sdwa v42, v40, v109 dst_sel:DWORD dst_unused:UNUSED_PAD src0_sel:DWORD src1_sel:BYTE_0
	global_load_dwordx4 v[36:39], v41, s[4:5]
	global_load_dwordx4 v[32:35], v42, s[4:5]
	v_add_u16_e32 v41, 0x68, v80
	v_mul_lo_u16_sdwa v42, v41, s2 dst_sel:DWORD dst_unused:UNUSED_PAD src0_sel:BYTE_0 src1_sel:DWORD
	v_lshrrev_b16_e32 v110, 10, v42
	v_mul_lo_u16_e32 v42, 13, v110
	v_sub_u16_e32 v111, v41, v42
	v_add_u16_e32 v42, 0x82, v80
	v_mul_lo_u16_sdwa v43, v42, s2 dst_sel:DWORD dst_unused:UNUSED_PAD src0_sel:BYTE_0 src1_sel:DWORD
	v_lshrrev_b16_e32 v112, 10, v43
	v_mul_lo_u16_e32 v43, 13, v112
	v_lshlrev_b32_sdwa v41, v40, v111 dst_sel:DWORD dst_unused:UNUSED_PAD src0_sel:DWORD src1_sel:BYTE_0
	v_sub_u16_e32 v113, v42, v43
	v_lshlrev_b32_sdwa v42, v40, v113 dst_sel:DWORD dst_unused:UNUSED_PAD src0_sel:DWORD src1_sel:BYTE_0
	global_load_dwordx4 v[52:55], v41, s[4:5]
	global_load_dwordx4 v[48:51], v42, s[4:5]
	v_add_u16_e32 v41, 0x9c, v80
	v_mul_lo_u16_sdwa v42, v41, s2 dst_sel:DWORD dst_unused:UNUSED_PAD src0_sel:BYTE_0 src1_sel:DWORD
	v_lshrrev_b16_e32 v42, 10, v42
	v_mul_lo_u16_e32 v42, 13, v42
	v_sub_u16_e32 v92, v41, v42
	v_lshlrev_b32_sdwa v40, v40, v92 dst_sel:DWORD dst_unused:UNUSED_PAD src0_sel:DWORD src1_sel:BYTE_0
	global_load_dwordx4 v[40:43], v40, s[4:5]
	v_mov_b32_e32 v93, 0xd0
	v_cmp_lt_u32_e64 s[2:3], 12, v80
	s_movk_i32 s6, 0xd0
	v_lshlrev_b32_e32 v81, 3, v81
	v_cndmask_b32_e64 v93, 0, v93, s[2:3]
	v_mov_b32_e32 v95, 3
	v_add_u32_e32 v93, 0, v93
	v_lshlrev_b32_e32 v94, 3, v94
	v_add3_u32 v93, v93, v94, v81
	v_mad_u32_u24 v94, v96, s6, 0
	v_lshlrev_b32_sdwa v96, v95, v97 dst_sel:DWORD dst_unused:UNUSED_PAD src0_sel:DWORD src1_sel:BYTE_0
	v_add3_u32 v94, v94, v96, v81
	v_mad_u32_u24 v114, v98, s6, 0
	v_lshlrev_b32_sdwa v115, v95, v99 dst_sel:DWORD dst_unused:UNUSED_PAD src0_sel:DWORD src1_sel:BYTE_0
	s_waitcnt lgkmcnt(0)
	; wave barrier
	s_waitcnt vmcnt(6) lgkmcnt(0)
	v_mul_f64 v[96:97], v[2:3], v[30:31]
	v_fmac_f64_e32 v[96:97], v[66:67], v[28:29]
	v_add_f64 v[96:97], v[84:85], -v[96:97]
	s_waitcnt vmcnt(5)
	v_mul_f64 v[98:99], v[20:21], v[26:27]
	v_fma_f64 v[84:85], v[84:85], 2.0, -v[96:97]
	v_fmac_f64_e32 v[98:99], v[60:61], v[24:25]
	ds_write2_b64 v93, v[84:85], v[96:97] offset1:13
	v_add_f64 v[84:85], v[68:69], -v[98:99]
	v_fma_f64 v[68:69], v[68:69], 2.0, -v[84:85]
	ds_write2_b64 v94, v[68:69], v[84:85] offset1:13
	v_lshlrev_b32_sdwa v68, v95, v109 dst_sel:DWORD dst_unused:UNUSED_PAD src0_sel:DWORD src1_sel:BYTE_0
	v_lshlrev_b32_sdwa v69, v95, v111 dst_sel:DWORD dst_unused:UNUSED_PAD src0_sel:DWORD src1_sel:BYTE_0
	s_waitcnt vmcnt(4)
	v_mul_f64 v[100:101], v[22:23], v[38:39]
	s_waitcnt vmcnt(3)
	v_mul_f64 v[102:103], v[16:17], v[34:35]
	v_fmac_f64_e32 v[102:103], v[56:57], v[32:33]
	v_fmac_f64_e32 v[100:101], v[62:63], v[36:37]
	v_add_f64 v[98:99], v[72:73], -v[102:103]
	v_add_f64 v[96:97], v[70:71], -v[100:101]
	v_fma_f64 v[70:71], v[70:71], 2.0, -v[96:97]
	v_fma_f64 v[72:73], v[72:73], 2.0, -v[98:99]
	s_waitcnt vmcnt(2)
	v_mul_f64 v[104:105], v[18:19], v[54:55]
	s_waitcnt vmcnt(1)
	v_mul_f64 v[106:107], v[88:89], v[50:51]
	v_fmac_f64_e32 v[106:107], v[82:83], v[48:49]
	v_fmac_f64_e32 v[104:105], v[58:59], v[52:53]
	v_add_f64 v[102:103], v[64:65], -v[106:107]
	v_add_f64 v[100:101], v[74:75], -v[104:105]
	v_fma_f64 v[104:105], v[64:65], 2.0, -v[102:103]
	v_mad_u32_u24 v65, v108, s6, 0
	v_add3_u32 v64, v114, v115, v81
	v_add3_u32 v65, v65, v68, v81
	v_mad_u32_u24 v68, v110, s6, 0
	ds_write2_b64 v64, v[70:71], v[96:97] offset1:13
	v_add3_u32 v68, v68, v69, v81
	v_mad_u32_u24 v69, v112, s6, 0
	v_lshlrev_b32_sdwa v70, v95, v113 dst_sel:DWORD dst_unused:UNUSED_PAD src0_sel:DWORD src1_sel:BYTE_0
	v_fma_f64 v[74:75], v[74:75], 2.0, -v[100:101]
	v_add3_u32 v69, v69, v70, v81
	ds_write2_b64 v65, v[72:73], v[98:99] offset1:13
	ds_write2_b64 v68, v[74:75], v[100:101] offset1:13
	;; [unrolled: 1-line block ×3, first 2 shown]
	s_and_saveexec_b64 s[2:3], s[0:1]
	s_cbranch_execz .LBB0_17
; %bb.16:
	v_lshlrev_b32_sdwa v70, v95, v92 dst_sel:DWORD dst_unused:UNUSED_PAD src0_sel:DWORD src1_sel:BYTE_0
	v_add3_u32 v72, 0, v70, v81
	s_waitcnt vmcnt(0)
	v_mul_f64 v[70:71], v[10:11], v[42:43]
	v_fmac_f64_e32 v[70:71], v[46:47], v[40:41]
	v_add_f64 v[70:71], v[44:45], -v[70:71]
	v_fma_f64 v[44:45], v[44:45], 2.0, -v[70:71]
	v_add_u32_e32 v72, 0x800, v72
	ds_write2_b64 v72, v[44:45], v[70:71] offset0:56 offset1:69
.LBB0_17:
	s_or_b64 exec, exec, s[2:3]
	v_mul_f64 v[26:27], v[60:61], v[26:27]
	v_fma_f64 v[20:21], v[20:21], v[24:25], -v[26:27]
	v_mul_f64 v[24:25], v[62:63], v[38:39]
	v_fma_f64 v[22:23], v[22:23], v[36:37], -v[24:25]
	;; [unrolled: 2-line block ×4, first 2 shown]
	v_mul_f64 v[24:25], v[82:83], v[50:51]
	v_add_f64 v[50:51], v[4:5], -v[16:17]
	v_fma_f64 v[52:53], v[4:5], 2.0, -v[50:51]
	v_lshlrev_b32_e32 v4, 3, v80
	v_mul_f64 v[30:31], v[66:67], v[30:31]
	v_fma_f64 v[24:25], v[88:89], v[48:49], -v[24:25]
	v_add3_u32 v38, 0, v4, v81
	v_fma_f64 v[2:3], v[2:3], v[28:29], -v[30:31]
	v_add_f64 v[30:31], v[12:13], -v[20:21]
	v_add_f64 v[34:35], v[14:15], -v[22:23]
	;; [unrolled: 1-line block ×4, first 2 shown]
	v_add_u32_e32 v4, 0x800, v38
	v_add_f64 v[26:27], v[86:87], -v[2:3]
	v_fma_f64 v[32:33], v[12:13], 2.0, -v[30:31]
	v_fma_f64 v[44:45], v[14:15], 2.0, -v[34:35]
	;; [unrolled: 1-line block ×4, first 2 shown]
	s_waitcnt lgkmcnt(0)
	; wave barrier
	s_waitcnt lgkmcnt(0)
	ds_read2_b64 v[0:3], v91 offset0:26 offset1:52
	ds_read2_b64 v[12:15], v91 offset0:78 offset1:104
	;; [unrolled: 1-line block ×5, first 2 shown]
	ds_read_b64 v[36:37], v90
	ds_read_b64 v[48:49], v91 offset:1040
	ds_read_b64 v[84:85], v38 offset:2496
	v_fma_f64 v[28:29], v[86:87], 2.0, -v[26:27]
	s_waitcnt lgkmcnt(0)
	; wave barrier
	s_waitcnt lgkmcnt(0)
	ds_write2_b64 v93, v[28:29], v[26:27] offset1:13
	ds_write2_b64 v94, v[32:33], v[30:31] offset1:13
	;; [unrolled: 1-line block ×6, first 2 shown]
	s_and_saveexec_b64 s[2:3], s[0:1]
	s_cbranch_execz .LBB0_19
; %bb.18:
	s_waitcnt vmcnt(0)
	v_mul_f64 v[24:25], v[46:47], v[42:43]
	v_fma_f64 v[10:11], v[10:11], v[40:41], -v[24:25]
	v_mov_b32_e32 v24, 3
	v_lshlrev_b32_sdwa v24, v24, v92 dst_sel:DWORD dst_unused:UNUSED_PAD src0_sel:DWORD src1_sel:BYTE_0
	v_add_f64 v[10:11], v[8:9], -v[10:11]
	v_add3_u32 v24, 0, v24, v81
	v_fma_f64 v[8:9], v[8:9], 2.0, -v[10:11]
	v_add_u32_e32 v24, 0x800, v24
	ds_write2_b64 v24, v[8:9], v[10:11] offset0:56 offset1:69
.LBB0_19:
	s_or_b64 exec, exec, s[2:3]
	s_waitcnt lgkmcnt(0)
	; wave barrier
	s_waitcnt lgkmcnt(0)
	s_and_saveexec_b64 s[0:1], vcc
	s_cbranch_execz .LBB0_21
; %bb.20:
	v_mul_u32_u24_e32 v8, 12, v80
	v_lshlrev_b32_e32 v39, 4, v8
	global_load_dwordx4 v[24:27], v39, s[4:5] offset:288
	global_load_dwordx4 v[8:11], v39, s[4:5] offset:304
	;; [unrolled: 1-line block ×10, first 2 shown]
	ds_read2_b64 v[60:63], v38 offset0:156 offset1:182
	ds_read2_b64 v[104:107], v38 offset0:208 offset1:234
	global_load_dwordx4 v[118:121], v39, s[4:5] offset:208
	global_load_dwordx4 v[122:125], v39, s[4:5] offset:384
	ds_read2_b64 v[108:111], v91 offset0:78 offset1:104
	s_waitcnt vmcnt(12)
	v_add_u32_e32 v40, 0x800, v38
	ds_read2_b64 v[114:117], v91 offset0:26 offset1:52
	ds_read_b64 v[130:131], v38 offset:2496
	ds_read_b64 v[68:69], v91 offset:1040
	ds_read_b64 v[38:39], v90
	ds_read2_b64 v[126:129], v40 offset0:4 offset1:30
	s_mov_b32 s16, 0x4bc48dbf
	s_mov_b32 s17, 0xbfcea1e5
	;; [unrolled: 1-line block ×32, first 2 shown]
	s_waitcnt vmcnt(11)
	v_mul_f64 v[40:41], v[20:21], v[24:25]
	s_waitcnt vmcnt(10)
	v_mul_f64 v[42:43], v[22:23], v[8:9]
	;; [unrolled: 2-line block ×3, first 2 shown]
	v_mul_f64 v[74:75], v[48:49], v[34:35]
	s_waitcnt vmcnt(7)
	v_mul_f64 v[50:51], v[14:15], v[64:65]
	s_waitcnt vmcnt(6)
	v_mul_f64 v[48:49], v[18:19], v[70:71]
	v_mul_f64 v[14:15], v[14:15], v[66:67]
	;; [unrolled: 1-line block ×3, first 2 shown]
	s_waitcnt vmcnt(5)
	v_mul_f64 v[56:57], v[12:13], v[80:81]
	v_mul_f64 v[12:13], v[12:13], v[82:83]
	s_waitcnt vmcnt(4)
	v_mul_f64 v[52:53], v[4:5], v[86:87]
	v_mul_f64 v[4:5], v[4:5], v[88:89]
	s_waitcnt lgkmcnt(2)
	v_fmac_f64_e32 v[46:47], v[68:69], v[34:35]
	v_fma_f64 v[34:35], v[68:69], v[32:33], -v[74:75]
	v_fmac_f64_e32 v[48:49], v[106:107], v[72:73]
	v_fma_f64 v[68:69], v[110:111], v[64:65], -v[14:15]
	v_fma_f64 v[64:65], v[106:107], v[70:71], -v[18:19]
	;; [unrolled: 1-line block ×3, first 2 shown]
	s_waitcnt vmcnt(1)
	v_mul_f64 v[80:81], v[0:1], v[118:119]
	s_waitcnt vmcnt(0)
	v_mul_f64 v[72:73], v[84:85], v[122:123]
	v_mul_f64 v[0:1], v[0:1], v[120:121]
	;; [unrolled: 1-line block ×4, first 2 shown]
	v_fmac_f64_e32 v[50:51], v[110:111], v[66:67]
	s_waitcnt lgkmcnt(0)
	v_fma_f64 v[66:67], v[126:127], v[86:87], -v[4:5]
	v_mul_f64 v[2:3], v[2:3], v[96:97]
	v_fmac_f64_e32 v[80:81], v[114:115], v[120:121]
	v_fmac_f64_e32 v[72:73], v[130:131], v[124:125]
	v_fma_f64 v[86:87], v[114:115], v[118:119], -v[0:1]
	v_mul_f64 v[0:1], v[84:85], v[124:125]
	v_fmac_f64_e32 v[56:57], v[108:109], v[82:83]
	v_fmac_f64_e32 v[58:59], v[116:117], v[96:97]
	;; [unrolled: 1-line block ×3, first 2 shown]
	v_fma_f64 v[82:83], v[116:117], v[94:95], -v[2:3]
	v_mul_f64 v[2:3], v[6:7], v[102:103]
	v_add_f64 v[116:117], v[80:81], -v[72:73]
	v_fma_f64 v[84:85], v[130:131], v[122:123], -v[0:1]
	v_fmac_f64_e32 v[52:53], v[126:127], v[88:89]
	v_add_f64 v[112:113], v[58:59], -v[54:55]
	v_fma_f64 v[74:75], v[128:129], v[100:101], -v[2:3]
	v_mul_f64 v[6:7], v[116:117], s[16:17]
	v_add_f64 v[96:97], v[86:87], v[84:85]
	v_mul_f64 v[44:45], v[16:17], v[28:29]
	v_mul_f64 v[16:17], v[16:17], v[30:31]
	v_add_f64 v[110:111], v[56:57], -v[52:53]
	v_mul_f64 v[12:13], v[112:113], s[10:11]
	v_add_f64 v[94:95], v[82:83], v[74:75]
	v_fma_f64 v[0:1], s[14:15], v[96:97], v[6:7]
	v_mul_f64 v[20:21], v[20:21], v[26:27]
	v_mul_f64 v[22:23], v[22:23], v[10:11]
	v_fmac_f64_e32 v[42:43], v[62:63], v[10:11]
	v_fmac_f64_e32 v[44:45], v[104:105], v[30:31]
	v_fma_f64 v[32:33], v[104:105], v[28:29], -v[16:17]
	v_add_f64 v[104:105], v[50:51], -v[48:49]
	v_add_f64 v[92:93], v[70:71], v[66:67]
	v_mul_f64 v[10:11], v[110:111], s[8:9]
	v_fma_f64 v[2:3], s[12:13], v[94:95], v[12:13]
	v_add_f64 v[0:1], v[38:39], v[0:1]
	v_add_f64 v[130:131], v[86:87], -v[84:85]
	v_fma_f64 v[6:7], v[96:97], s[14:15], -v[6:7]
	v_fmac_f64_e32 v[40:41], v[60:61], v[26:27]
	v_fma_f64 v[60:61], v[60:61], v[24:25], -v[20:21]
	v_fma_f64 v[62:63], v[62:63], v[8:9], -v[22:23]
	v_add_f64 v[98:99], v[46:47], -v[44:45]
	v_add_f64 v[90:91], v[68:69], v[64:65]
	v_mul_f64 v[8:9], v[104:105], s[20:21]
	v_fma_f64 v[18:19], s[6:7], v[92:93], v[10:11]
	v_add_f64 v[0:1], v[2:3], v[0:1]
	v_add_f64 v[126:127], v[82:83], -v[74:75]
	v_add_f64 v[108:109], v[80:81], v[72:73]
	v_mul_f64 v[20:21], v[130:131], s[16:17]
	v_fma_f64 v[12:13], v[94:95], s[12:13], -v[12:13]
	v_add_f64 v[6:7], v[38:39], v[6:7]
	v_add_f64 v[88:89], v[34:35], v[32:33]
	v_mul_f64 v[4:5], v[98:99], s[2:3]
	v_fma_f64 v[16:17], s[4:5], v[90:91], v[8:9]
	v_add_f64 v[0:1], v[18:19], v[0:1]
	v_add_f64 v[122:123], v[70:71], -v[66:67]
	v_add_f64 v[106:107], v[58:59], v[54:55]
	v_mul_f64 v[18:19], v[126:127], s[10:11]
	v_fma_f64 v[22:23], v[108:109], s[14:15], -v[20:21]
	v_add_f64 v[6:7], v[12:13], v[6:7]
	v_fma_f64 v[10:11], v[92:93], s[6:7], -v[10:11]
	v_fma_f64 v[14:15], s[0:1], v[88:89], v[4:5]
	v_add_f64 v[0:1], v[16:17], v[0:1]
	v_add_f64 v[118:119], v[68:69], -v[64:65]
	v_add_f64 v[102:103], v[56:57], v[52:53]
	v_mul_f64 v[16:17], v[122:123], s[8:9]
	v_fma_f64 v[2:3], v[106:107], s[12:13], -v[18:19]
	v_add_f64 v[22:23], v[36:37], v[22:23]
	v_add_f64 v[6:7], v[10:11], v[6:7]
	v_fma_f64 v[8:9], v[90:91], s[4:5], -v[8:9]
	v_add_f64 v[0:1], v[14:15], v[0:1]
	v_add_f64 v[100:101], v[50:51], v[48:49]
	v_mul_f64 v[14:15], v[118:119], s[20:21]
	v_add_f64 v[2:3], v[2:3], v[22:23]
	v_fma_f64 v[22:23], v[102:103], s[6:7], -v[16:17]
	v_add_f64 v[6:7], v[8:9], v[6:7]
	v_fma_f64 v[4:5], v[88:89], s[0:1], -v[4:5]
	v_fmac_f64_e32 v[20:21], s[14:15], v[108:109]
	v_add_f64 v[2:3], v[22:23], v[2:3]
	v_fma_f64 v[22:23], v[100:101], s[4:5], -v[14:15]
	v_add_f64 v[128:129], v[34:35], -v[32:33]
	v_add_f64 v[4:5], v[4:5], v[6:7]
	v_fmac_f64_e32 v[18:19], s[12:13], v[106:107]
	v_add_f64 v[6:7], v[36:37], v[20:21]
	v_add_f64 v[2:3], v[22:23], v[2:3]
	;; [unrolled: 1-line block ×3, first 2 shown]
	v_mul_f64 v[22:23], v[128:129], s[2:3]
	v_add_f64 v[132:133], v[40:41], -v[42:43]
	v_add_f64 v[6:7], v[18:19], v[6:7]
	v_fmac_f64_e32 v[16:17], s[6:7], v[102:103]
	v_fma_f64 v[24:25], v[114:115], s[0:1], -v[22:23]
	v_mul_f64 v[26:27], v[132:133], s[24:25]
	v_add_f64 v[124:125], v[60:61], v[62:63]
	v_add_f64 v[134:135], v[60:61], -v[62:63]
	v_add_f64 v[6:7], v[16:17], v[6:7]
	v_fmac_f64_e32 v[14:15], s[4:5], v[100:101]
	v_add_f64 v[24:25], v[24:25], v[2:3]
	v_fma_f64 v[2:3], s[18:19], v[124:125], v[26:27]
	v_add_f64 v[120:121], v[40:41], v[42:43]
	v_mul_f64 v[28:29], v[134:135], s[24:25]
	v_add_f64 v[6:7], v[14:15], v[6:7]
	v_fmac_f64_e32 v[22:23], s[0:1], v[114:115]
	v_add_f64 v[2:3], v[2:3], v[0:1]
	v_fma_f64 v[0:1], v[120:121], s[18:19], -v[28:29]
	v_add_f64 v[8:9], v[22:23], v[6:7]
	v_fma_f64 v[6:7], v[124:125], s[18:19], -v[26:27]
	v_fmac_f64_e32 v[28:29], s[18:19], v[120:121]
	v_mul_f64 v[12:13], v[116:117], s[8:9]
	v_add_f64 v[6:7], v[6:7], v[4:5]
	v_add_f64 v[4:5], v[28:29], v[8:9]
	v_fma_f64 v[8:9], s[6:7], v[96:97], v[12:13]
	v_mul_f64 v[14:15], v[112:113], s[24:25]
	v_add_f64 v[8:9], v[38:39], v[8:9]
	v_fma_f64 v[10:11], s[18:19], v[94:95], v[14:15]
	v_mul_f64 v[16:17], v[110:111], s[22:23]
	;; [unrolled: 3-line block ×5, first 2 shown]
	v_add_f64 v[0:1], v[0:1], v[24:25]
	v_add_f64 v[8:9], v[10:11], v[8:9]
	v_fma_f64 v[10:11], v[108:109], s[6:7], -v[22:23]
	v_mul_f64 v[24:25], v[126:127], s[24:25]
	v_fma_f64 v[12:13], v[96:97], s[6:7], -v[12:13]
	v_add_f64 v[10:11], v[36:37], v[10:11]
	v_fma_f64 v[26:27], v[106:107], s[18:19], -v[24:25]
	v_fma_f64 v[14:15], v[94:95], s[18:19], -v[14:15]
	v_add_f64 v[12:13], v[38:39], v[12:13]
	v_add_f64 v[10:11], v[26:27], v[10:11]
	v_mul_f64 v[26:27], v[122:123], s[22:23]
	v_add_f64 v[12:13], v[14:15], v[12:13]
	v_fma_f64 v[14:15], v[92:93], s[4:5], -v[16:17]
	v_fma_f64 v[28:29], v[102:103], s[4:5], -v[26:27]
	v_add_f64 v[12:13], v[14:15], v[12:13]
	v_fma_f64 v[14:15], v[90:91], s[14:15], -v[18:19]
	v_add_f64 v[10:11], v[28:29], v[10:11]
	v_mul_f64 v[28:29], v[118:119], s[30:31]
	v_add_f64 v[12:13], v[14:15], v[12:13]
	v_fma_f64 v[14:15], v[88:89], s[12:13], -v[20:21]
	v_fmac_f64_e32 v[22:23], s[6:7], v[108:109]
	v_fma_f64 v[30:31], v[100:101], s[14:15], -v[28:29]
	v_add_f64 v[12:13], v[14:15], v[12:13]
	v_fmac_f64_e32 v[24:25], s[18:19], v[106:107]
	v_add_f64 v[14:15], v[36:37], v[22:23]
	v_add_f64 v[10:11], v[30:31], v[10:11]
	v_mul_f64 v[30:31], v[128:129], s[10:11]
	v_add_f64 v[14:15], v[24:25], v[14:15]
	v_fmac_f64_e32 v[26:27], s[4:5], v[102:103]
	v_fma_f64 v[136:137], v[114:115], s[12:13], -v[30:31]
	v_mul_f64 v[138:139], v[132:133], s[2:3]
	v_add_f64 v[14:15], v[26:27], v[14:15]
	v_fmac_f64_e32 v[28:29], s[14:15], v[100:101]
	v_add_f64 v[136:137], v[136:137], v[10:11]
	v_fma_f64 v[10:11], s[0:1], v[124:125], v[138:139]
	v_mul_f64 v[140:141], v[134:135], s[2:3]
	v_add_f64 v[14:15], v[28:29], v[14:15]
	v_fmac_f64_e32 v[30:31], s[12:13], v[114:115]
	v_add_f64 v[10:11], v[10:11], v[8:9]
	v_fma_f64 v[8:9], v[120:121], s[0:1], -v[140:141]
	v_add_f64 v[16:17], v[30:31], v[14:15]
	v_fma_f64 v[14:15], v[124:125], s[0:1], -v[138:139]
	v_fmac_f64_e32 v[140:141], s[0:1], v[120:121]
	v_mul_f64 v[20:21], v[116:117], s[2:3]
	v_add_f64 v[14:15], v[14:15], v[12:13]
	v_add_f64 v[12:13], v[140:141], v[16:17]
	v_fma_f64 v[16:17], s[0:1], v[96:97], v[20:21]
	v_mul_f64 v[22:23], v[112:113], s[28:29]
	v_add_f64 v[16:17], v[38:39], v[16:17]
	v_fma_f64 v[18:19], s[6:7], v[94:95], v[22:23]
	v_mul_f64 v[24:25], v[110:111], s[10:11]
	;; [unrolled: 3-line block ×5, first 2 shown]
	v_add_f64 v[8:9], v[8:9], v[136:137]
	v_add_f64 v[16:17], v[18:19], v[16:17]
	v_fma_f64 v[18:19], v[108:109], s[0:1], -v[30:31]
	v_mul_f64 v[136:137], v[126:127], s[28:29]
	v_fma_f64 v[20:21], v[96:97], s[0:1], -v[20:21]
	v_add_f64 v[18:19], v[36:37], v[18:19]
	v_fma_f64 v[138:139], v[106:107], s[6:7], -v[136:137]
	v_fma_f64 v[22:23], v[94:95], s[6:7], -v[22:23]
	v_add_f64 v[20:21], v[38:39], v[20:21]
	v_add_f64 v[18:19], v[138:139], v[18:19]
	v_mul_f64 v[138:139], v[122:123], s[10:11]
	v_add_f64 v[20:21], v[22:23], v[20:21]
	v_fma_f64 v[22:23], v[92:93], s[12:13], -v[24:25]
	v_fma_f64 v[140:141], v[102:103], s[12:13], -v[138:139]
	v_add_f64 v[20:21], v[22:23], v[20:21]
	v_fma_f64 v[22:23], v[90:91], s[18:19], -v[26:27]
	v_add_f64 v[18:19], v[140:141], v[18:19]
	v_mul_f64 v[140:141], v[118:119], s[26:27]
	v_add_f64 v[20:21], v[22:23], v[20:21]
	v_fma_f64 v[22:23], v[88:89], s[14:15], -v[28:29]
	v_fmac_f64_e32 v[30:31], s[0:1], v[108:109]
	v_fma_f64 v[142:143], v[100:101], s[18:19], -v[140:141]
	v_add_f64 v[20:21], v[22:23], v[20:21]
	v_fmac_f64_e32 v[136:137], s[6:7], v[106:107]
	v_add_f64 v[22:23], v[36:37], v[30:31]
	v_add_f64 v[18:19], v[142:143], v[18:19]
	v_mul_f64 v[142:143], v[128:129], s[30:31]
	v_add_f64 v[22:23], v[136:137], v[22:23]
	v_fmac_f64_e32 v[138:139], s[12:13], v[102:103]
	v_fma_f64 v[144:145], v[114:115], s[14:15], -v[142:143]
	v_mul_f64 v[146:147], v[132:133], s[20:21]
	v_add_f64 v[22:23], v[138:139], v[22:23]
	v_fmac_f64_e32 v[140:141], s[18:19], v[100:101]
	v_add_f64 v[144:145], v[144:145], v[18:19]
	v_fma_f64 v[18:19], s[4:5], v[124:125], v[146:147]
	v_mul_f64 v[148:149], v[134:135], s[20:21]
	v_add_f64 v[22:23], v[140:141], v[22:23]
	v_fmac_f64_e32 v[142:143], s[14:15], v[114:115]
	v_add_f64 v[18:19], v[18:19], v[16:17]
	v_fma_f64 v[16:17], v[120:121], s[4:5], -v[148:149]
	v_add_f64 v[24:25], v[142:143], v[22:23]
	v_fma_f64 v[22:23], v[124:125], s[4:5], -v[146:147]
	v_fmac_f64_e32 v[148:149], s[4:5], v[120:121]
	v_mul_f64 v[28:29], v[116:117], s[26:27]
	v_add_f64 v[22:23], v[22:23], v[20:21]
	v_add_f64 v[20:21], v[148:149], v[24:25]
	v_fma_f64 v[24:25], s[18:19], v[96:97], v[28:29]
	v_mul_f64 v[30:31], v[112:113], s[16:17]
	s_mov_b32 s21, 0x3fedeba7
	s_mov_b32 s20, s2
	v_add_f64 v[24:25], v[38:39], v[24:25]
	v_fma_f64 v[26:27], s[14:15], v[94:95], v[30:31]
	v_mul_f64 v[136:137], v[110:111], s[20:21]
	v_add_f64 v[24:25], v[26:27], v[24:25]
	v_fma_f64 v[26:27], s[0:1], v[92:93], v[136:137]
	v_mul_f64 v[138:139], v[104:105], s[10:11]
	v_add_f64 v[24:25], v[26:27], v[24:25]
	v_fma_f64 v[26:27], s[12:13], v[90:91], v[138:139]
	v_mul_f64 v[140:141], v[98:99], s[22:23]
	v_add_f64 v[24:25], v[26:27], v[24:25]
	v_fma_f64 v[26:27], s[4:5], v[88:89], v[140:141]
	v_mul_f64 v[142:143], v[130:131], s[26:27]
	v_add_f64 v[16:17], v[16:17], v[144:145]
	v_add_f64 v[24:25], v[26:27], v[24:25]
	v_fma_f64 v[26:27], v[108:109], s[18:19], -v[142:143]
	v_mul_f64 v[144:145], v[126:127], s[16:17]
	v_fma_f64 v[28:29], v[96:97], s[18:19], -v[28:29]
	v_add_f64 v[26:27], v[36:37], v[26:27]
	v_fma_f64 v[146:147], v[106:107], s[14:15], -v[144:145]
	v_fma_f64 v[30:31], v[94:95], s[14:15], -v[30:31]
	v_add_f64 v[28:29], v[38:39], v[28:29]
	v_add_f64 v[26:27], v[146:147], v[26:27]
	v_mul_f64 v[146:147], v[122:123], s[20:21]
	v_add_f64 v[28:29], v[30:31], v[28:29]
	v_fma_f64 v[30:31], v[92:93], s[0:1], -v[136:137]
	v_fma_f64 v[148:149], v[102:103], s[0:1], -v[146:147]
	v_add_f64 v[28:29], v[30:31], v[28:29]
	v_fma_f64 v[30:31], v[90:91], s[12:13], -v[138:139]
	v_add_f64 v[26:27], v[148:149], v[26:27]
	v_mul_f64 v[148:149], v[118:119], s[10:11]
	v_add_f64 v[28:29], v[30:31], v[28:29]
	v_fma_f64 v[30:31], v[88:89], s[4:5], -v[140:141]
	v_fmac_f64_e32 v[142:143], s[18:19], v[108:109]
	v_fma_f64 v[150:151], v[100:101], s[12:13], -v[148:149]
	v_add_f64 v[28:29], v[30:31], v[28:29]
	v_fmac_f64_e32 v[144:145], s[14:15], v[106:107]
	v_add_f64 v[30:31], v[36:37], v[142:143]
	v_add_f64 v[26:27], v[150:151], v[26:27]
	v_mul_f64 v[150:151], v[128:129], s[22:23]
	v_add_f64 v[30:31], v[144:145], v[30:31]
	v_fmac_f64_e32 v[146:147], s[0:1], v[102:103]
	v_fma_f64 v[152:153], v[114:115], s[4:5], -v[150:151]
	v_mul_f64 v[154:155], v[132:133], s[8:9]
	v_add_f64 v[30:31], v[146:147], v[30:31]
	v_fmac_f64_e32 v[148:149], s[12:13], v[100:101]
	v_add_f64 v[152:153], v[152:153], v[26:27]
	v_fma_f64 v[26:27], s[6:7], v[124:125], v[154:155]
	v_mul_f64 v[156:157], v[134:135], s[8:9]
	v_add_f64 v[30:31], v[148:149], v[30:31]
	v_fmac_f64_e32 v[150:151], s[4:5], v[114:115]
	v_add_f64 v[26:27], v[26:27], v[24:25]
	v_fma_f64 v[24:25], v[120:121], s[6:7], -v[156:157]
	v_add_f64 v[136:137], v[150:151], v[30:31]
	v_fma_f64 v[30:31], v[124:125], s[6:7], -v[154:155]
	v_fmac_f64_e32 v[156:157], s[6:7], v[120:121]
	v_mul_f64 v[140:141], v[116:117], s[22:23]
	v_add_f64 v[30:31], v[30:31], v[28:29]
	v_add_f64 v[28:29], v[156:157], v[136:137]
	v_fma_f64 v[136:137], s[4:5], v[96:97], v[140:141]
	v_mul_f64 v[142:143], v[112:113], s[2:3]
	v_add_f64 v[136:137], v[38:39], v[136:137]
	v_fma_f64 v[138:139], s[0:1], v[94:95], v[142:143]
	v_mul_f64 v[144:145], v[110:111], s[16:17]
	;; [unrolled: 3-line block ×5, first 2 shown]
	v_add_f64 v[24:25], v[24:25], v[152:153]
	v_add_f64 v[136:137], v[138:139], v[136:137]
	v_fma_f64 v[138:139], v[108:109], s[4:5], -v[150:151]
	v_mul_f64 v[152:153], v[126:127], s[2:3]
	v_fma_f64 v[140:141], v[96:97], s[4:5], -v[140:141]
	v_add_f64 v[138:139], v[36:37], v[138:139]
	v_fma_f64 v[154:155], v[106:107], s[0:1], -v[152:153]
	v_fma_f64 v[142:143], v[94:95], s[0:1], -v[142:143]
	v_add_f64 v[140:141], v[38:39], v[140:141]
	v_add_f64 v[138:139], v[154:155], v[138:139]
	v_mul_f64 v[154:155], v[122:123], s[16:17]
	v_add_f64 v[140:141], v[142:143], v[140:141]
	v_fma_f64 v[142:143], v[92:93], s[14:15], -v[144:145]
	v_fma_f64 v[156:157], v[102:103], s[14:15], -v[154:155]
	v_add_f64 v[140:141], v[142:143], v[140:141]
	v_fma_f64 v[142:143], v[90:91], s[6:7], -v[146:147]
	v_add_f64 v[138:139], v[156:157], v[138:139]
	v_mul_f64 v[156:157], v[118:119], s[28:29]
	v_add_f64 v[140:141], v[142:143], v[140:141]
	v_fma_f64 v[142:143], v[88:89], s[18:19], -v[148:149]
	v_fmac_f64_e32 v[150:151], s[4:5], v[108:109]
	v_fma_f64 v[158:159], v[100:101], s[6:7], -v[156:157]
	v_add_f64 v[140:141], v[142:143], v[140:141]
	v_fmac_f64_e32 v[152:153], s[0:1], v[106:107]
	v_add_f64 v[142:143], v[36:37], v[150:151]
	v_add_f64 v[138:139], v[158:159], v[138:139]
	v_mul_f64 v[158:159], v[128:129], s[24:25]
	v_add_f64 v[142:143], v[152:153], v[142:143]
	v_fmac_f64_e32 v[154:155], s[14:15], v[102:103]
	v_fma_f64 v[160:161], v[114:115], s[18:19], -v[158:159]
	v_mul_f64 v[162:163], v[132:133], s[10:11]
	v_add_f64 v[142:143], v[154:155], v[142:143]
	v_fmac_f64_e32 v[156:157], s[6:7], v[100:101]
	v_add_f64 v[160:161], v[160:161], v[138:139]
	v_fma_f64 v[138:139], s[12:13], v[124:125], v[162:163]
	v_mul_f64 v[164:165], v[134:135], s[10:11]
	v_add_f64 v[142:143], v[156:157], v[142:143]
	v_fmac_f64_e32 v[158:159], s[18:19], v[114:115]
	s_mov_b32 s11, 0xbfddbe06
	v_add_f64 v[138:139], v[138:139], v[136:137]
	v_fma_f64 v[136:137], v[120:121], s[12:13], -v[164:165]
	v_add_f64 v[144:145], v[158:159], v[142:143]
	v_fma_f64 v[142:143], v[124:125], s[12:13], -v[162:163]
	v_fmac_f64_e32 v[164:165], s[12:13], v[120:121]
	v_mul_f64 v[116:117], v[116:117], s[10:11]
	v_add_f64 v[142:143], v[142:143], v[140:141]
	v_add_f64 v[140:141], v[164:165], v[144:145]
	v_mul_f64 v[144:145], v[112:113], s[22:23]
	v_fma_f64 v[112:113], s[12:13], v[96:97], v[116:117]
	v_fma_f64 v[96:97], v[96:97], s[12:13], -v[116:117]
	v_add_f64 v[112:113], v[38:39], v[112:113]
	v_add_f64 v[96:97], v[38:39], v[96:97]
	;; [unrolled: 1-line block ×9, first 2 shown]
	v_fma_f64 v[146:147], s[4:5], v[94:95], v[144:145]
	v_add_f64 v[32:33], v[32:33], v[34:35]
	v_add_f64 v[112:113], v[146:147], v[112:113]
	v_mul_f64 v[146:147], v[110:111], s[26:27]
	v_add_f64 v[32:33], v[64:65], v[32:33]
	v_fma_f64 v[110:111], s[18:19], v[92:93], v[146:147]
	v_mul_f64 v[104:105], v[104:105], s[2:3]
	v_add_f64 v[32:33], v[66:67], v[32:33]
	v_add_f64 v[110:111], v[110:111], v[112:113]
	v_fma_f64 v[112:113], s[0:1], v[90:91], v[104:105]
	v_mul_f64 v[98:99], v[98:99], s[8:9]
	v_add_f64 v[32:33], v[74:75], v[32:33]
	;; [unrolled: 4-line block ×3, first 2 shown]
	v_add_f64 v[32:33], v[36:37], v[80:81]
	v_add_f64 v[110:111], v[112:113], v[110:111]
	v_mul_f64 v[126:127], v[126:127], s[22:23]
	v_fma_f64 v[112:113], v[108:109], s[12:13], -v[130:131]
	v_add_f64 v[32:33], v[58:59], v[32:33]
	v_add_f64 v[112:113], v[36:37], v[112:113]
	v_fma_f64 v[148:149], v[106:107], s[4:5], -v[126:127]
	v_mul_f64 v[122:123], v[122:123], s[26:27]
	v_fma_f64 v[94:95], v[94:95], s[4:5], -v[144:145]
	v_add_f64 v[32:33], v[56:57], v[32:33]
	v_add_f64 v[112:113], v[148:149], v[112:113]
	v_fma_f64 v[148:149], v[102:103], s[18:19], -v[122:123]
	v_mul_f64 v[118:119], v[118:119], s[2:3]
	v_fma_f64 v[92:93], v[92:93], s[18:19], -v[146:147]
	v_add_f64 v[94:95], v[94:95], v[96:97]
	v_add_f64 v[32:33], v[50:51], v[32:33]
	v_add_f64 v[112:113], v[148:149], v[112:113]
	v_fma_f64 v[148:149], v[100:101], s[0:1], -v[118:119]
	v_mul_f64 v[128:129], v[128:129], s[8:9]
	v_fma_f64 v[90:91], v[90:91], s[0:1], -v[104:105]
	v_add_f64 v[92:93], v[92:93], v[94:95]
	;; [unrolled: 6-line block ×3, first 2 shown]
	v_add_f64 v[32:33], v[40:41], v[32:33]
	v_add_f64 v[148:149], v[148:149], v[112:113]
	v_fma_f64 v[112:113], s[14:15], v[124:125], v[132:133]
	v_fma_f64 v[124:125], v[124:125], s[14:15], -v[132:133]
	v_add_f64 v[88:89], v[88:89], v[90:91]
	v_fmac_f64_e32 v[130:131], s[12:13], v[108:109]
	v_add_f64 v[32:33], v[42:43], v[32:33]
	v_fmac_f64_e32 v[126:127], s[4:5], v[106:107]
	v_add_f64 v[90:91], v[124:125], v[88:89]
	v_add_f64 v[88:89], v[36:37], v[130:131]
	;; [unrolled: 1-line block ×3, first 2 shown]
	v_fmac_f64_e32 v[122:123], s[18:19], v[102:103]
	v_add_f64 v[88:89], v[126:127], v[88:89]
	v_add_f64 v[32:33], v[48:49], v[32:33]
	v_fmac_f64_e32 v[118:119], s[0:1], v[100:101]
	v_add_f64 v[88:89], v[122:123], v[88:89]
	v_add_f64 v[32:33], v[52:53], v[32:33]
	v_mul_f64 v[134:135], v[134:135], s[16:17]
	v_fmac_f64_e32 v[128:129], s[6:7], v[114:115]
	v_add_f64 v[88:89], v[118:119], v[88:89]
	v_add_f64 v[32:33], v[54:55], v[32:33]
	;; [unrolled: 1-line block ×3, first 2 shown]
	v_fma_f64 v[110:111], v[120:121], s[14:15], -v[134:135]
	v_fmac_f64_e32 v[134:135], s[14:15], v[120:121]
	v_add_f64 v[88:89], v[128:129], v[88:89]
	v_add_f64 v[32:33], v[72:73], v[32:33]
	v_lshl_add_u64 v[36:37], v[78:79], 4, v[76:77]
	v_add_f64 v[88:89], v[134:135], v[88:89]
	global_store_dwordx4 v[36:37], v[32:35], off
	global_store_dwordx4 v[36:37], v[88:91], off offset:416
	global_store_dwordx4 v[36:37], v[140:143], off offset:832
	;; [unrolled: 1-line block ×9, first 2 shown]
	v_add_co_u32_e32 v0, vcc, 0x1000, v36
	v_add_f64 v[136:137], v[136:137], v[160:161]
	s_nop 0
	v_addc_co_u32_e32 v1, vcc, 0, v37, vcc
	v_add_f64 v[110:111], v[110:111], v[148:149]
	global_store_dwordx4 v[0:1], v[24:27], off offset:64
	global_store_dwordx4 v[0:1], v[136:139], off offset:480
	;; [unrolled: 1-line block ×3, first 2 shown]
.LBB0_21:
	s_endpgm
	.section	.rodata,"a",@progbits
	.p2align	6, 0x0
	.amdhsa_kernel fft_rtc_back_len338_factors_13_2_13_wgs_52_tpt_26_halfLds_dp_ip_CI_unitstride_sbrr_dirReg
		.amdhsa_group_segment_fixed_size 0
		.amdhsa_private_segment_fixed_size 0
		.amdhsa_kernarg_size 88
		.amdhsa_user_sgpr_count 2
		.amdhsa_user_sgpr_dispatch_ptr 0
		.amdhsa_user_sgpr_queue_ptr 0
		.amdhsa_user_sgpr_kernarg_segment_ptr 1
		.amdhsa_user_sgpr_dispatch_id 0
		.amdhsa_user_sgpr_kernarg_preload_length 0
		.amdhsa_user_sgpr_kernarg_preload_offset 0
		.amdhsa_user_sgpr_private_segment_size 0
		.amdhsa_uses_dynamic_stack 0
		.amdhsa_enable_private_segment 0
		.amdhsa_system_sgpr_workgroup_id_x 1
		.amdhsa_system_sgpr_workgroup_id_y 0
		.amdhsa_system_sgpr_workgroup_id_z 0
		.amdhsa_system_sgpr_workgroup_info 0
		.amdhsa_system_vgpr_workitem_id 0
		.amdhsa_next_free_vgpr 166
		.amdhsa_next_free_sgpr 44
		.amdhsa_accum_offset 168
		.amdhsa_reserve_vcc 1
		.amdhsa_float_round_mode_32 0
		.amdhsa_float_round_mode_16_64 0
		.amdhsa_float_denorm_mode_32 3
		.amdhsa_float_denorm_mode_16_64 3
		.amdhsa_dx10_clamp 1
		.amdhsa_ieee_mode 1
		.amdhsa_fp16_overflow 0
		.amdhsa_tg_split 0
		.amdhsa_exception_fp_ieee_invalid_op 0
		.amdhsa_exception_fp_denorm_src 0
		.amdhsa_exception_fp_ieee_div_zero 0
		.amdhsa_exception_fp_ieee_overflow 0
		.amdhsa_exception_fp_ieee_underflow 0
		.amdhsa_exception_fp_ieee_inexact 0
		.amdhsa_exception_int_div_zero 0
	.end_amdhsa_kernel
	.text
.Lfunc_end0:
	.size	fft_rtc_back_len338_factors_13_2_13_wgs_52_tpt_26_halfLds_dp_ip_CI_unitstride_sbrr_dirReg, .Lfunc_end0-fft_rtc_back_len338_factors_13_2_13_wgs_52_tpt_26_halfLds_dp_ip_CI_unitstride_sbrr_dirReg
                                        ; -- End function
	.section	.AMDGPU.csdata,"",@progbits
; Kernel info:
; codeLenInByte = 10464
; NumSgprs: 50
; NumVgprs: 166
; NumAgprs: 0
; TotalNumVgprs: 166
; ScratchSize: 0
; MemoryBound: 1
; FloatMode: 240
; IeeeMode: 1
; LDSByteSize: 0 bytes/workgroup (compile time only)
; SGPRBlocks: 6
; VGPRBlocks: 20
; NumSGPRsForWavesPerEU: 50
; NumVGPRsForWavesPerEU: 166
; AccumOffset: 168
; Occupancy: 3
; WaveLimiterHint : 1
; COMPUTE_PGM_RSRC2:SCRATCH_EN: 0
; COMPUTE_PGM_RSRC2:USER_SGPR: 2
; COMPUTE_PGM_RSRC2:TRAP_HANDLER: 0
; COMPUTE_PGM_RSRC2:TGID_X_EN: 1
; COMPUTE_PGM_RSRC2:TGID_Y_EN: 0
; COMPUTE_PGM_RSRC2:TGID_Z_EN: 0
; COMPUTE_PGM_RSRC2:TIDIG_COMP_CNT: 0
; COMPUTE_PGM_RSRC3_GFX90A:ACCUM_OFFSET: 41
; COMPUTE_PGM_RSRC3_GFX90A:TG_SPLIT: 0
	.text
	.p2alignl 6, 3212836864
	.fill 256, 4, 3212836864
	.type	__hip_cuid_cde25317461e9776,@object ; @__hip_cuid_cde25317461e9776
	.section	.bss,"aw",@nobits
	.globl	__hip_cuid_cde25317461e9776
__hip_cuid_cde25317461e9776:
	.byte	0                               ; 0x0
	.size	__hip_cuid_cde25317461e9776, 1

	.ident	"AMD clang version 19.0.0git (https://github.com/RadeonOpenCompute/llvm-project roc-6.4.0 25133 c7fe45cf4b819c5991fe208aaa96edf142730f1d)"
	.section	".note.GNU-stack","",@progbits
	.addrsig
	.addrsig_sym __hip_cuid_cde25317461e9776
	.amdgpu_metadata
---
amdhsa.kernels:
  - .agpr_count:     0
    .args:
      - .actual_access:  read_only
        .address_space:  global
        .offset:         0
        .size:           8
        .value_kind:     global_buffer
      - .offset:         8
        .size:           8
        .value_kind:     by_value
      - .actual_access:  read_only
        .address_space:  global
        .offset:         16
        .size:           8
        .value_kind:     global_buffer
      - .actual_access:  read_only
        .address_space:  global
        .offset:         24
        .size:           8
        .value_kind:     global_buffer
      - .offset:         32
        .size:           8
        .value_kind:     by_value
      - .actual_access:  read_only
        .address_space:  global
        .offset:         40
        .size:           8
        .value_kind:     global_buffer
      - .actual_access:  read_only
        .address_space:  global
        .offset:         48
        .size:           8
        .value_kind:     global_buffer
      - .offset:         56
        .size:           4
        .value_kind:     by_value
      - .actual_access:  read_only
        .address_space:  global
        .offset:         64
        .size:           8
        .value_kind:     global_buffer
      - .actual_access:  read_only
        .address_space:  global
        .offset:         72
        .size:           8
        .value_kind:     global_buffer
      - .address_space:  global
        .offset:         80
        .size:           8
        .value_kind:     global_buffer
    .group_segment_fixed_size: 0
    .kernarg_segment_align: 8
    .kernarg_segment_size: 88
    .language:       OpenCL C
    .language_version:
      - 2
      - 0
    .max_flat_workgroup_size: 52
    .name:           fft_rtc_back_len338_factors_13_2_13_wgs_52_tpt_26_halfLds_dp_ip_CI_unitstride_sbrr_dirReg
    .private_segment_fixed_size: 0
    .sgpr_count:     50
    .sgpr_spill_count: 0
    .symbol:         fft_rtc_back_len338_factors_13_2_13_wgs_52_tpt_26_halfLds_dp_ip_CI_unitstride_sbrr_dirReg.kd
    .uniform_work_group_size: 1
    .uses_dynamic_stack: false
    .vgpr_count:     166
    .vgpr_spill_count: 0
    .wavefront_size: 64
amdhsa.target:   amdgcn-amd-amdhsa--gfx950
amdhsa.version:
  - 1
  - 2
...

	.end_amdgpu_metadata
